;; amdgpu-corpus repo=zjin-lcf/HeCBench kind=compiled arch=gfx1250 opt=O3
	.amdgcn_target "amdgcn-amd-amdhsa--gfx1250"
	.amdhsa_code_object_version 6
	.text
	.protected	_Z11bucketcountPKfPiPjS0_i ; -- Begin function _Z11bucketcountPKfPiPjS0_i
	.globl	_Z11bucketcountPKfPiPjS0_i
	.p2align	8
	.type	_Z11bucketcountPKfPiPjS0_i,@function
_Z11bucketcountPKfPiPjS0_i:             ; @_Z11bucketcountPKfPiPjS0_i
; %bb.0:
	s_clause 0x1
	s_load_b32 s3, s[0:1], 0x34
	s_load_b32 s2, s[0:1], 0x28
	v_cmp_ne_u32_e32 vcc_lo, 0x3ff, v0
	v_dual_mov_b32 v2, v0 :: v_dual_sub_nc_u32 v1, 0x400, v0
	v_sub_nc_u32_e32 v6, 0x3fe, v0
	s_mov_b32 s4, -1
	s_wait_kmcnt 0x0
	s_and_b32 s12, s3, 0xffff
	s_delay_alu instid0(SALU_CYCLE_1) | instskip(SKIP_1) | instid1(SALU_CYCLE_1)
	s_cmp_eq_u32 s12, 1
	s_cselect_b32 s3, -1, 0
	s_and_b32 s13, vcc_lo, s3
	s_delay_alu instid0(SALU_CYCLE_1)
	s_and_saveexec_b32 s3, s13
	s_cbranch_execz .LBB0_9
; %bb.1:
	v_dual_mov_b32 v7, 0 :: v_dual_lshrrev_b32 v2, 1, v6
	s_mov_b32 s4, exec_lo
	s_delay_alu instid0(VALU_DEP_1)
	v_add_nc_u32_e32 v2, 1, v2
	v_cmpx_lt_u32_e32 13, v6
	s_cbranch_execz .LBB0_5
; %bb.2:
	s_delay_alu instid0(VALU_DEP_2)
	v_dual_lshlrev_b32 v4, 2, v0 :: v_dual_bitop2_b32 v3, -8, v2 bitop3:0x40
	v_mov_b32_e32 v5, 0
	s_mov_b32 s5, 0
	s_mov_b32 s6, 0
.LBB0_3:                                ; =>This Inner Loop Header: Depth=1
	s_delay_alu instid0(VALU_DEP_2)
	v_add_nc_u32_e32 v3, -8, v3
	ds_store_2addr_b32 v4, v5, v5 offset1:1
	ds_store_2addr_b32 v4, v5, v5 offset0:2 offset1:3
	ds_store_2addr_b32 v4, v5, v5 offset0:4 offset1:5
	;; [unrolled: 1-line block ×7, first 2 shown]
	s_add_co_i32 s6, s6, 16
	v_add_nc_u32_e32 v4, 64, v4
	v_cmp_eq_u32_e32 vcc_lo, 0, v3
	v_mov_b32_e32 v7, s6
	s_or_b32 s5, vcc_lo, s5
	s_delay_alu instid0(SALU_CYCLE_1)
	s_and_not1_b32 exec_lo, exec_lo, s5
	s_cbranch_execnz .LBB0_3
; %bb.4:
	s_or_b32 exec_lo, exec_lo, s5
.LBB0_5:
	s_delay_alu instid0(SALU_CYCLE_1) | instskip(NEXT) | instid1(VALU_DEP_2)
	s_or_b32 exec_lo, exec_lo, s4
	v_and_b32_e32 v2, 7, v2
	s_mov_b32 s5, 0
	s_mov_b32 s4, exec_lo
	s_delay_alu instid0(VALU_DEP_1)
	v_cmpx_ne_u32_e32 0, v2
	s_cbranch_execz .LBB0_8
; %bb.6:
	v_dual_lshlrev_b32 v3, 2, v7 :: v_dual_lshlrev_b32 v2, 3, v2
	v_mov_b32_e32 v4, 0
	s_delay_alu instid0(VALU_DEP_2)
	v_lshl_add_u32 v3, v0, 2, v3
.LBB0_7:                                ; =>This Inner Loop Header: Depth=1
	s_delay_alu instid0(VALU_DEP_3) | instskip(SKIP_4) | instid1(SALU_CYCLE_1)
	v_add_nc_u32_e32 v2, -8, v2
	ds_store_2addr_b32 v3, v4, v4 offset1:1
	v_add_nc_u32_e32 v3, 8, v3
	v_cmp_eq_u32_e32 vcc_lo, 0, v2
	s_or_b32 s5, vcc_lo, s5
	s_and_not1_b32 exec_lo, exec_lo, s5
	s_cbranch_execnz .LBB0_7
.LBB0_8:
	s_or_b32 exec_lo, exec_lo, s4
	v_and_b32_e32 v2, 0x7fe, v1
	s_delay_alu instid0(VALU_DEP_1)
	v_cmp_ne_u32_e32 vcc_lo, v1, v2
	v_add_nc_u32_e32 v2, v0, v2
	s_or_not1_b32 s4, vcc_lo, exec_lo
.LBB0_9:
	s_or_b32 exec_lo, exec_lo, s3
	s_and_saveexec_b32 s3, s4
	s_cbranch_execz .LBB0_12
; %bb.10:
	v_dual_mov_b32 v4, 0 :: v_dual_lshlrev_b32 v3, 2, v2
	s_lshl_b32 s4, s12, 2
	s_mov_b32 s5, 0
.LBB0_11:                               ; =>This Inner Loop Header: Depth=1
	v_add_nc_u32_e32 v2, s12, v2
	ds_store_b32 v3, v4
	v_add_nc_u32_e32 v3, s4, v3
	v_cmp_lt_u32_e32 vcc_lo, 0x3ff, v2
	s_or_b32 s5, vcc_lo, s5
	s_delay_alu instid0(SALU_CYCLE_1)
	s_and_not1_b32 exec_lo, exec_lo, s5
	s_cbranch_execnz .LBB0_11
.LBB0_12:
	s_or_b32 exec_lo, exec_lo, s3
	s_bfe_u32 s3, ttmp6, 0x4000c
	s_clause 0x1
	s_load_b256 s[4:11], s[0:1], 0x0
	s_load_b32 s15, s[0:1], 0x20
	s_add_co_i32 s3, s3, 1
	s_wait_xcnt 0x0
	s_and_b32 s0, ttmp6, 15
	s_mul_i32 s1, ttmp9, s3
	s_getreg_b32 s3, hwreg(HW_REG_IB_STS2, 6, 4)
	s_add_co_i32 s0, s0, s1
	s_cmp_eq_u32 s3, 0
	s_mov_b32 s16, 0
	s_cselect_b32 s14, ttmp9, s0
	s_mov_b32 s17, exec_lo
	v_mad_u32 v2, s14, s12, v0
	s_wait_dscnt 0x0
	s_barrier_signal -1
	s_barrier_wait -1
	s_wait_kmcnt 0x0
	s_delay_alu instid0(VALU_DEP_1)
	v_cmpx_gt_i32_e64 s15, v2
	s_cbranch_execz .LBB0_15
; %bb.13:
	s_load_b32 s18, s[10:11], 0x7fc
	v_dual_lshlrev_b32 v4, 7, v0 :: v_dual_ashrrev_i32 v3, 31, v2
	s_mul_i32 s0, s2, s12
	v_dual_mov_b32 v8, 0xffffff80 :: v_dual_mov_b32 v9, 1
	s_delay_alu instid0(VALU_DEP_2) | instskip(NEXT) | instid1(VALU_DEP_3)
	v_and_b32_e32 v7, 0x1f000, v4
	v_lshlrev_b64_e32 v[4:5], 2, v[2:3]
	v_mov_b32_e32 v3, 0xff
	s_ashr_i32 s1, s0, 31
	s_delay_alu instid0(SALU_CYCLE_1)
	s_lshl_b64 s[2:3], s[0:1], 2
.LBB0_14:                               ; =>This Inner Loop Header: Depth=1
	s_delay_alu instid0(VALU_DEP_2)
	v_add_nc_u64_e32 v[10:11], s[4:5], v[4:5]
	v_add_nc_u32_e32 v2, s0, v2
	global_load_b32 v10, v[10:11], off
	s_wait_loadcnt 0x0
	s_wait_kmcnt 0x0
	v_cmp_gt_f32_e32 vcc_lo, s18, v10
	s_wait_xcnt 0x0
	v_cndmask_b32_e32 v11, 0x2ff, v3, vcc_lo
	global_load_b32 v12, v11, s[10:11] scale_offset
	s_wait_loadcnt 0x0
	v_cmp_lt_f32_e32 vcc_lo, v10, v12
	v_cndmask_b32_e32 v12, 0x80, v8, vcc_lo
	s_wait_xcnt 0x0
	s_delay_alu instid0(VALU_DEP_1)
	v_add_nc_u32_e32 v11, v12, v11
	global_load_b32 v12, v11, s[10:11] scale_offset
	s_wait_loadcnt 0x0
	v_cmp_lt_f32_e32 vcc_lo, v10, v12
	v_cndmask_b32_e64 v12, 64, 0xffffffc0, vcc_lo
	s_wait_xcnt 0x0
	s_delay_alu instid0(VALU_DEP_1)
	v_add_nc_u32_e32 v11, v12, v11
	global_load_b32 v12, v11, s[10:11] scale_offset
	s_wait_loadcnt 0x0
	v_cmp_lt_f32_e32 vcc_lo, v10, v12
	v_cndmask_b32_e64 v12, 32, 0xffffffe0, vcc_lo
	s_wait_xcnt 0x0
	s_delay_alu instid0(VALU_DEP_1)
	v_add_nc_u32_e32 v11, v12, v11
	global_load_b32 v12, v11, s[10:11] scale_offset
	s_wait_loadcnt 0x0
	v_cmp_lt_f32_e32 vcc_lo, v10, v12
	v_cndmask_b32_e64 v12, 16, -16, vcc_lo
	s_wait_xcnt 0x0
	s_delay_alu instid0(VALU_DEP_1)
	v_add_nc_u32_e32 v11, v12, v11
	global_load_b32 v12, v11, s[10:11] scale_offset
	s_wait_loadcnt 0x0
	v_cmp_lt_f32_e32 vcc_lo, v10, v12
	v_cndmask_b32_e64 v12, 8, -8, vcc_lo
	s_wait_xcnt 0x0
	s_delay_alu instid0(VALU_DEP_1)
	v_add_nc_u32_e32 v11, v12, v11
	global_load_b32 v12, v11, s[10:11] scale_offset
	s_wait_loadcnt 0x0
	v_cmp_lt_f32_e32 vcc_lo, v10, v12
	v_cndmask_b32_e64 v12, 4, -4, vcc_lo
	s_wait_xcnt 0x0
	s_delay_alu instid0(VALU_DEP_1)
	v_add_nc_u32_e32 v11, v12, v11
	global_load_b32 v12, v11, s[10:11] scale_offset
	s_wait_loadcnt 0x0
	v_cmp_lt_f32_e32 vcc_lo, v10, v12
	v_cndmask_b32_e64 v12, 2, -2, vcc_lo
	s_wait_xcnt 0x0
	s_delay_alu instid0(VALU_DEP_1) | instskip(SKIP_4) | instid1(VALU_DEP_1)
	v_add_nc_u32_e32 v11, v12, v11
	global_load_b32 v12, v11, s[10:11] scale_offset
	s_wait_loadcnt 0x0
	v_cmp_lt_f32_e32 vcc_lo, v10, v12
	v_cndmask_b32_e64 v12, 1, -1, vcc_lo
	v_add_nc_u32_e32 v13, v12, v11
	global_load_b32 v13, v13, s[10:11] scale_offset
	s_wait_loadcnt 0x0
	v_cmp_nlt_f32_e32 vcc_lo, v10, v13
	v_add_co_ci_u32_e64 v12, null, v12, v11, vcc_lo
	v_cmp_le_i32_e32 vcc_lo, s15, v2
	s_delay_alu instid0(VALU_DEP_2)
	v_lshl_add_u32 v10, v12, 2, v7
	s_or_b32 s16, vcc_lo, s16
	s_wait_xcnt 0x0
	ds_add_rtn_u32 v13, v10, v9
	v_add_nc_u64_e32 v[10:11], s[6:7], v[4:5]
	v_add_nc_u64_e32 v[4:5], s[2:3], v[4:5]
	s_wait_dscnt 0x0
	v_lshl_add_u32 v12, v13, 10, v12
	global_store_b32 v[10:11], v12, off
	s_wait_xcnt 0x0
	s_and_not1_b32 exec_lo, exec_lo, s16
	s_cbranch_execnz .LBB0_14
.LBB0_15:
	s_or_b32 exec_lo, exec_lo, s17
	s_lshl_b32 s0, s14, 10
	s_mov_b32 s2, -1
	s_wait_storecnt 0x0
	s_barrier_signal -1
	s_barrier_wait -1
	s_and_saveexec_b32 s1, s13
	s_cbranch_execz .LBB0_24
; %bb.16:
	v_lshrrev_b32_e32 v2, 1, v6
	v_cmp_lt_u32_e32 vcc_lo, 13, v6
	s_delay_alu instid0(VALU_DEP_2)
	v_dual_mov_b32 v6, 0 :: v_dual_add_nc_u32 v2, 1, v2
	s_and_saveexec_b32 s2, vcc_lo
	s_cbranch_execz .LBB0_20
; %bb.17:
	s_delay_alu instid0(VALU_DEP_1)
	v_dual_add_nc_u32 v4, s0, v0 :: v_dual_bitop2_b32 v3, -8, v2 bitop3:0x40
	v_lshlrev_b32_e32 v5, 2, v0
	s_mov_b32 s3, 0
	s_mov_b32 s4, 0
.LBB0_18:                               ; =>This Inner Loop Header: Depth=1
	ds_load_2addr_b32 v[10:11], v5 offset1:1
	ds_load_2addr_b32 v[12:13], v5 offset0:2 offset1:3
	ds_load_2addr_b32 v[14:15], v5 offset0:4 offset1:5
	;; [unrolled: 1-line block ×7, first 2 shown]
	v_dual_add_nc_u32 v8, s4, v4 :: v_dual_add_nc_u32 v5, 64, v5
	s_add_co_i32 s4, s4, 16
	s_delay_alu instid0(SALU_CYCLE_1) | instskip(NEXT) | instid1(VALU_DEP_2)
	v_dual_mov_b32 v6, s4 :: v_dual_add_nc_u32 v3, -8, v3
	v_dual_ashrrev_i32 v9, 31, v8 :: v_dual_add_nc_u32 v26, 2, v8
	v_dual_add_nc_u32 v28, 4, v8 :: v_dual_add_nc_u32 v30, 6, v8
	v_dual_add_nc_u32 v32, 8, v8 :: v_dual_add_nc_u32 v34, 10, v8
	;; [unrolled: 1-line block ×3, first 2 shown]
	s_delay_alu instid0(VALU_DEP_3) | instskip(SKIP_1) | instid1(VALU_DEP_4)
	v_dual_ashrrev_i32 v27, 31, v26 :: v_dual_ashrrev_i32 v29, 31, v28
	v_cmp_eq_u32_e32 vcc_lo, 0, v3
	v_dual_ashrrev_i32 v31, 31, v30 :: v_dual_ashrrev_i32 v33, 31, v32
	v_lshl_add_u64 v[8:9], v[8:9], 2, s[8:9]
	v_dual_ashrrev_i32 v35, 31, v34 :: v_dual_ashrrev_i32 v37, 31, v36
	v_ashrrev_i32_e32 v39, 31, v38
	s_wait_dscnt 0x7
	v_and_b32_e32 v11, 0x7ffffff, v11
	v_and_b32_e32 v10, 0x7ffffff, v10
	v_lshl_add_u64 v[26:27], v[26:27], 2, s[8:9]
	s_wait_dscnt 0x6
	v_and_b32_e32 v13, 0x7ffffff, v13
	v_and_b32_e32 v12, 0x7ffffff, v12
	v_lshl_add_u64 v[28:29], v[28:29], 2, s[8:9]
	s_wait_dscnt 0x5
	v_and_b32_e32 v15, 0x7ffffff, v15
	v_and_b32_e32 v14, 0x7ffffff, v14
	s_or_b32 s3, vcc_lo, s3
	v_lshl_add_u64 v[30:31], v[30:31], 2, s[8:9]
	s_wait_dscnt 0x4
	v_and_b32_e32 v17, 0x7ffffff, v17
	v_and_b32_e32 v16, 0x7ffffff, v16
	v_lshl_add_u64 v[32:33], v[32:33], 2, s[8:9]
	s_wait_dscnt 0x3
	v_and_b32_e32 v19, 0x7ffffff, v19
	v_and_b32_e32 v18, 0x7ffffff, v18
	v_lshl_add_u64 v[34:35], v[34:35], 2, s[8:9]
	v_lshl_add_u64 v[36:37], v[36:37], 2, s[8:9]
	v_lshl_add_u64 v[38:39], v[38:39], 2, s[8:9]
	s_wait_dscnt 0x2
	v_and_b32_e32 v21, 0x7ffffff, v21
	v_and_b32_e32 v20, 0x7ffffff, v20
	s_wait_dscnt 0x1
	v_and_b32_e32 v23, 0x7ffffff, v23
	v_and_b32_e32 v22, 0x7ffffff, v22
	;; [unrolled: 3-line block ×3, first 2 shown]
	s_clause 0x7
	global_store_b64 v[8:9], v[10:11], off
	global_store_b64 v[26:27], v[12:13], off
	;; [unrolled: 1-line block ×8, first 2 shown]
	s_wait_xcnt 0x0
	s_and_not1_b32 exec_lo, exec_lo, s3
	s_cbranch_execnz .LBB0_18
; %bb.19:
	s_or_b32 exec_lo, exec_lo, s3
.LBB0_20:
	s_delay_alu instid0(SALU_CYCLE_1) | instskip(NEXT) | instid1(VALU_DEP_1)
	s_or_b32 exec_lo, exec_lo, s2
	v_and_b32_e32 v3, 7, v2
	s_mov_b32 s3, 0
	s_mov_b32 s2, exec_lo
	s_delay_alu instid0(VALU_DEP_1)
	v_cmpx_ne_u32_e32 0, v3
	s_cbranch_execz .LBB0_23
; %bb.21:
	v_dual_add_nc_u32 v4, v0, v6 :: v_dual_lshlrev_b32 v5, 2, v3
	s_delay_alu instid0(VALU_DEP_1)
	v_dual_add_nc_u32 v2, s0, v4 :: v_dual_lshlrev_b32 v4, 2, v4
.LBB0_22:                               ; =>This Inner Loop Header: Depth=1
	ds_load_2addr_b32 v[6:7], v4 offset1:1
	v_dual_add_nc_u32 v5, -4, v5 :: v_dual_ashrrev_i32 v3, 31, v2
	v_add_nc_u32_e32 v4, 8, v4
	s_delay_alu instid0(VALU_DEP_2) | instskip(NEXT) | instid1(VALU_DEP_3)
	v_cmp_eq_u32_e32 vcc_lo, 0, v5
	v_lshl_add_u64 v[8:9], v[2:3], 2, s[8:9]
	v_add_nc_u32_e32 v2, 2, v2
	s_or_b32 s3, vcc_lo, s3
	s_wait_dscnt 0x0
	v_and_b32_e32 v7, 0x7ffffff, v7
	v_and_b32_e32 v6, 0x7ffffff, v6
	global_store_b64 v[8:9], v[6:7], off
	s_wait_xcnt 0x0
	s_and_not1_b32 exec_lo, exec_lo, s3
	s_cbranch_execnz .LBB0_22
.LBB0_23:
	s_or_b32 exec_lo, exec_lo, s2
	v_and_b32_e32 v2, 0x7fe, v1
	s_delay_alu instid0(VALU_DEP_1)
	v_cmp_ne_u32_e32 vcc_lo, v1, v2
	v_add_nc_u32_e32 v0, v0, v2
	s_or_not1_b32 s2, vcc_lo, exec_lo
.LBB0_24:
	s_or_b32 exec_lo, exec_lo, s1
	s_and_saveexec_b32 s1, s2
	s_cbranch_execz .LBB0_27
; %bb.25:
	v_mov_b32_e32 v1, 0
	s_ashr_i32 s1, s0, 31
	s_delay_alu instid0(VALU_DEP_1) | instid1(SALU_CYCLE_1)
	v_add_nc_u64_e32 v[2:3], s[0:1], v[0:1]
	v_lshlrev_b32_e32 v1, 2, v0
	s_mov_b32 s1, 0
	s_lshl_b32 s0, s12, 2
	s_mov_b32 s2, s1
	s_delay_alu instid0(VALU_DEP_2)
	v_lshl_add_u64 v[2:3], v[2:3], 2, s[8:9]
.LBB0_26:                               ; =>This Inner Loop Header: Depth=1
	ds_load_b32 v4, v1
	v_dual_add_nc_u32 v0, s12, v0 :: v_dual_add_nc_u32 v1, s0, v1
	s_delay_alu instid0(VALU_DEP_1)
	v_cmp_lt_u32_e32 vcc_lo, 0x3ff, v0
	s_or_b32 s2, vcc_lo, s2
	s_wait_dscnt 0x0
	v_and_b32_e32 v4, 0x7ffffff, v4
	global_store_b32 v[2:3], v4, off
	s_wait_xcnt 0x0
	v_add_nc_u64_e32 v[2:3], s[0:1], v[2:3]
	s_and_not1_b32 exec_lo, exec_lo, s2
	s_cbranch_execnz .LBB0_26
.LBB0_27:
	s_endpgm
	.section	.rodata,"a",@progbits
	.p2align	6, 0x0
	.amdhsa_kernel _Z11bucketcountPKfPiPjS0_i
		.amdhsa_group_segment_fixed_size 4096
		.amdhsa_private_segment_fixed_size 0
		.amdhsa_kernarg_size 296
		.amdhsa_user_sgpr_count 2
		.amdhsa_user_sgpr_dispatch_ptr 0
		.amdhsa_user_sgpr_queue_ptr 0
		.amdhsa_user_sgpr_kernarg_segment_ptr 1
		.amdhsa_user_sgpr_dispatch_id 0
		.amdhsa_user_sgpr_kernarg_preload_length 0
		.amdhsa_user_sgpr_kernarg_preload_offset 0
		.amdhsa_user_sgpr_private_segment_size 0
		.amdhsa_wavefront_size32 1
		.amdhsa_uses_dynamic_stack 0
		.amdhsa_enable_private_segment 0
		.amdhsa_system_sgpr_workgroup_id_x 1
		.amdhsa_system_sgpr_workgroup_id_y 0
		.amdhsa_system_sgpr_workgroup_id_z 0
		.amdhsa_system_sgpr_workgroup_info 0
		.amdhsa_system_vgpr_workitem_id 0
		.amdhsa_next_free_vgpr 40
		.amdhsa_next_free_sgpr 19
		.amdhsa_named_barrier_count 0
		.amdhsa_reserve_vcc 1
		.amdhsa_float_round_mode_32 0
		.amdhsa_float_round_mode_16_64 0
		.amdhsa_float_denorm_mode_32 3
		.amdhsa_float_denorm_mode_16_64 3
		.amdhsa_fp16_overflow 0
		.amdhsa_memory_ordered 1
		.amdhsa_forward_progress 1
		.amdhsa_inst_pref_size 16
		.amdhsa_round_robin_scheduling 0
		.amdhsa_exception_fp_ieee_invalid_op 0
		.amdhsa_exception_fp_denorm_src 0
		.amdhsa_exception_fp_ieee_div_zero 0
		.amdhsa_exception_fp_ieee_overflow 0
		.amdhsa_exception_fp_ieee_underflow 0
		.amdhsa_exception_fp_ieee_inexact 0
		.amdhsa_exception_int_div_zero 0
	.end_amdhsa_kernel
	.text
.Lfunc_end0:
	.size	_Z11bucketcountPKfPiPjS0_i, .Lfunc_end0-_Z11bucketcountPKfPiPjS0_i
                                        ; -- End function
	.set _Z11bucketcountPKfPiPjS0_i.num_vgpr, 40
	.set _Z11bucketcountPKfPiPjS0_i.num_agpr, 0
	.set _Z11bucketcountPKfPiPjS0_i.numbered_sgpr, 19
	.set _Z11bucketcountPKfPiPjS0_i.num_named_barrier, 0
	.set _Z11bucketcountPKfPiPjS0_i.private_seg_size, 0
	.set _Z11bucketcountPKfPiPjS0_i.uses_vcc, 1
	.set _Z11bucketcountPKfPiPjS0_i.uses_flat_scratch, 0
	.set _Z11bucketcountPKfPiPjS0_i.has_dyn_sized_stack, 0
	.set _Z11bucketcountPKfPiPjS0_i.has_recursion, 0
	.set _Z11bucketcountPKfPiPjS0_i.has_indirect_call, 0
	.section	.AMDGPU.csdata,"",@progbits
; Kernel info:
; codeLenInByte = 2044
; TotalNumSgprs: 21
; NumVgprs: 40
; ScratchSize: 0
; MemoryBound: 0
; FloatMode: 240
; IeeeMode: 1
; LDSByteSize: 4096 bytes/workgroup (compile time only)
; SGPRBlocks: 0
; VGPRBlocks: 2
; NumSGPRsForWavesPerEU: 21
; NumVGPRsForWavesPerEU: 40
; NamedBarCnt: 0
; Occupancy: 16
; WaveLimiterHint : 0
; COMPUTE_PGM_RSRC2:SCRATCH_EN: 0
; COMPUTE_PGM_RSRC2:USER_SGPR: 2
; COMPUTE_PGM_RSRC2:TRAP_HANDLER: 0
; COMPUTE_PGM_RSRC2:TGID_X_EN: 1
; COMPUTE_PGM_RSRC2:TGID_Y_EN: 0
; COMPUTE_PGM_RSRC2:TGID_Z_EN: 0
; COMPUTE_PGM_RSRC2:TIDIG_COMP_CNT: 0
	.text
	.protected	_Z12bucketprefixPjS_i   ; -- Begin function _Z12bucketprefixPjS_i
	.globl	_Z12bucketprefixPjS_i
	.p2align	8
	.type	_Z12bucketprefixPjS_i,@function
_Z12bucketprefixPjS_i:                  ; @_Z12bucketprefixPjS_i
; %bb.0:
	s_clause 0x1
	s_load_b32 s2, s[0:1], 0x24
	s_load_b32 s4, s[0:1], 0x10
	s_bfe_u32 s3, ttmp6, 0x4000c
	s_and_b32 s5, ttmp6, 15
	s_add_co_i32 s3, s3, 1
	s_getreg_b32 s6, hwreg(HW_REG_IB_STS2, 6, 4)
	s_mul_i32 s3, ttmp9, s3
	s_delay_alu instid0(SALU_CYCLE_1)
	s_add_co_i32 s5, s5, s3
	s_wait_kmcnt 0x0
	s_and_b32 s2, s2, 0xffff
	s_cmp_eq_u32 s6, 0
	s_cselect_b32 s3, ttmp9, s5
	s_lshl_b32 s4, s4, 10
	v_mad_u32 v2, s3, s2, v0
	s_mov_b32 s2, exec_lo
                                        ; implicit-def: $vgpr0_vgpr1
	s_delay_alu instid0(VALU_DEP_1)
	v_ashrrev_i32_e32 v3, 31, v2
	v_cmpx_le_i32_e64 s4, v2
	s_xor_b32 s2, exec_lo, s2
; %bb.1:
	s_delay_alu instid0(VALU_DEP_2)
	v_mov_b64_e32 v[0:1], v[2:3]
                                        ; implicit-def: $vgpr2
; %bb.2:
	s_or_saveexec_b32 s5, s2
	s_load_b128 s[0:3], s[0:1], 0x0
	v_mov_b32_e32 v6, 0
	s_xor_b32 exec_lo, exec_lo, s5
	s_cbranch_execz .LBB1_6
; %bb.3:
	v_mov_b64_e32 v[0:1], v[2:3]
	s_wait_kmcnt 0x0
	v_lshl_add_u64 v[4:5], v[2:3], 2, s[0:1]
	v_mov_b32_e32 v6, 0
	s_mov_b32 s0, 0
.LBB1_4:                                ; =>This Inner Loop Header: Depth=1
	global_load_b32 v3, v[4:5], off
	v_add_nc_u32_e32 v2, 0x400, v2
	global_store_b32 v[4:5], v6, off
	s_wait_xcnt 0x0
	v_add_nc_u64_e32 v[4:5], 0x1000, v[4:5]
	v_cmp_le_i32_e32 vcc_lo, s4, v2
	s_or_b32 s0, vcc_lo, s0
	s_wait_loadcnt 0x0
	v_add_nc_u32_e32 v6, v3, v6
	s_and_not1_b32 exec_lo, exec_lo, s0
	s_cbranch_execnz .LBB1_4
; %bb.5:
	s_or_b32 exec_lo, exec_lo, s0
.LBB1_6:
	s_delay_alu instid0(SALU_CYCLE_1)
	s_or_b32 exec_lo, exec_lo, s5
	s_wait_kmcnt 0x0
	v_lshl_add_u64 v[0:1], v[0:1], 2, s[2:3]
	global_store_b32 v[0:1], v6, off
	s_endpgm
	.section	.rodata,"a",@progbits
	.p2align	6, 0x0
	.amdhsa_kernel _Z12bucketprefixPjS_i
		.amdhsa_group_segment_fixed_size 0
		.amdhsa_private_segment_fixed_size 0
		.amdhsa_kernarg_size 280
		.amdhsa_user_sgpr_count 2
		.amdhsa_user_sgpr_dispatch_ptr 0
		.amdhsa_user_sgpr_queue_ptr 0
		.amdhsa_user_sgpr_kernarg_segment_ptr 1
		.amdhsa_user_sgpr_dispatch_id 0
		.amdhsa_user_sgpr_kernarg_preload_length 0
		.amdhsa_user_sgpr_kernarg_preload_offset 0
		.amdhsa_user_sgpr_private_segment_size 0
		.amdhsa_wavefront_size32 1
		.amdhsa_uses_dynamic_stack 0
		.amdhsa_enable_private_segment 0
		.amdhsa_system_sgpr_workgroup_id_x 1
		.amdhsa_system_sgpr_workgroup_id_y 0
		.amdhsa_system_sgpr_workgroup_id_z 0
		.amdhsa_system_sgpr_workgroup_info 0
		.amdhsa_system_vgpr_workitem_id 0
		.amdhsa_next_free_vgpr 7
		.amdhsa_next_free_sgpr 7
		.amdhsa_named_barrier_count 0
		.amdhsa_reserve_vcc 1
		.amdhsa_float_round_mode_32 0
		.amdhsa_float_round_mode_16_64 0
		.amdhsa_float_denorm_mode_32 3
		.amdhsa_float_denorm_mode_16_64 3
		.amdhsa_fp16_overflow 0
		.amdhsa_memory_ordered 1
		.amdhsa_forward_progress 1
		.amdhsa_inst_pref_size 3
		.amdhsa_round_robin_scheduling 0
		.amdhsa_exception_fp_ieee_invalid_op 0
		.amdhsa_exception_fp_denorm_src 0
		.amdhsa_exception_fp_ieee_div_zero 0
		.amdhsa_exception_fp_ieee_overflow 0
		.amdhsa_exception_fp_ieee_underflow 0
		.amdhsa_exception_fp_ieee_inexact 0
		.amdhsa_exception_int_div_zero 0
	.end_amdhsa_kernel
	.text
.Lfunc_end1:
	.size	_Z12bucketprefixPjS_i, .Lfunc_end1-_Z12bucketprefixPjS_i
                                        ; -- End function
	.set _Z12bucketprefixPjS_i.num_vgpr, 7
	.set _Z12bucketprefixPjS_i.num_agpr, 0
	.set _Z12bucketprefixPjS_i.numbered_sgpr, 7
	.set _Z12bucketprefixPjS_i.num_named_barrier, 0
	.set _Z12bucketprefixPjS_i.private_seg_size, 0
	.set _Z12bucketprefixPjS_i.uses_vcc, 1
	.set _Z12bucketprefixPjS_i.uses_flat_scratch, 0
	.set _Z12bucketprefixPjS_i.has_dyn_sized_stack, 0
	.set _Z12bucketprefixPjS_i.has_recursion, 0
	.set _Z12bucketprefixPjS_i.has_indirect_call, 0
	.section	.AMDGPU.csdata,"",@progbits
; Kernel info:
; codeLenInByte = 272
; TotalNumSgprs: 9
; NumVgprs: 7
; ScratchSize: 0
; MemoryBound: 0
; FloatMode: 240
; IeeeMode: 1
; LDSByteSize: 0 bytes/workgroup (compile time only)
; SGPRBlocks: 0
; VGPRBlocks: 0
; NumSGPRsForWavesPerEU: 9
; NumVGPRsForWavesPerEU: 7
; NamedBarCnt: 0
; Occupancy: 16
; WaveLimiterHint : 0
; COMPUTE_PGM_RSRC2:SCRATCH_EN: 0
; COMPUTE_PGM_RSRC2:USER_SGPR: 2
; COMPUTE_PGM_RSRC2:TRAP_HANDLER: 0
; COMPUTE_PGM_RSRC2:TGID_X_EN: 1
; COMPUTE_PGM_RSRC2:TGID_Y_EN: 0
; COMPUTE_PGM_RSRC2:TGID_Z_EN: 0
; COMPUTE_PGM_RSRC2:TIDIG_COMP_CNT: 0
	.text
	.protected	_Z10bucketsortPKfPKiPfPKjS5_i ; -- Begin function _Z10bucketsortPKfPKiPfPKjS5_i
	.globl	_Z10bucketsortPKfPKiPfPKjS5_i
	.p2align	8
	.type	_Z10bucketsortPKfPKiPfPKjS5_i,@function
_Z10bucketsortPKfPKiPfPKjS5_i:          ; @_Z10bucketsortPKfPKiPfPKjS5_i
; %bb.0:
	s_clause 0x3
	s_load_b32 s12, s[0:1], 0x3c
	s_load_b64 s[2:3], s[0:1], 0x20
	s_load_b32 s16, s[0:1], 0x30
	s_load_b256 s[4:11], s[0:1], 0x0
	s_bfe_u32 s13, ttmp6, 0x4000c
	s_and_b32 s14, ttmp6, 15
	s_add_co_i32 s13, s13, 1
	s_getreg_b32 s15, hwreg(HW_REG_IB_STS2, 6, 4)
	s_mul_i32 s13, ttmp9, s13
	v_cmp_ne_u32_e32 vcc_lo, 0x3ff, v0
	s_add_co_i32 s14, s14, s13
	s_cmp_eq_u32 s15, 0
	v_mov_b32_e32 v1, v0
	s_cselect_b32 s18, ttmp9, s14
	s_mov_b32 s14, -1
	s_wait_kmcnt 0x0
	s_and_b32 s17, s12, 0xffff
	s_lshl_b32 s12, s18, 10
	s_cmp_eq_u32 s17, 1
	s_cselect_b32 s13, -1, 0
	s_delay_alu instid0(SALU_CYCLE_1) | instskip(NEXT) | instid1(SALU_CYCLE_1)
	s_and_b32 s15, vcc_lo, s13
	s_and_saveexec_b32 s13, s15
	s_cbranch_execz .LBB2_9
; %bb.1:
	v_sub_nc_u32_e32 v1, 0x3fe, v0
	s_delay_alu instid0(VALU_DEP_1) | instskip(SKIP_1) | instid1(VALU_DEP_2)
	v_lshrrev_b32_e32 v2, 1, v1
	v_cmp_lt_u32_e32 vcc_lo, 13, v1
	v_dual_mov_b32 v2, 0 :: v_dual_add_nc_u32 v1, 1, v2
	s_and_saveexec_b32 s14, vcc_lo
	s_cbranch_execz .LBB2_5
; %bb.2:
	s_delay_alu instid0(VALU_DEP_1)
	v_dual_add_nc_u32 v5, s12, v0 :: v_dual_bitop2_b32 v4, -8, v1 bitop3:0x40
	v_dual_mov_b32 v3, 0 :: v_dual_lshlrev_b32 v6, 2, v0
	s_mov_b32 s15, 0
	s_mov_b32 s19, 0
.LBB2_3:                                ; =>This Inner Loop Header: Depth=1
	s_delay_alu instid0(VALU_DEP_2) | instid1(SALU_CYCLE_1)
	v_dual_add_nc_u32 v2, s19, v0 :: v_dual_add_nc_u32 v8, s19, v5
	s_delay_alu instid0(VALU_DEP_2) | instskip(SKIP_1) | instid1(VALU_DEP_3)
	v_dual_mov_b32 v11, v3 :: v_dual_mov_b32 v13, v3
	v_dual_mov_b32 v15, v3 :: v_dual_mov_b32 v17, v3
	v_dual_ashrrev_i32 v9, 31, v8 :: v_dual_add_nc_u32 v10, 2, v2
	v_lshl_add_u64 v[22:23], v[2:3], 2, s[2:3]
	v_dual_add_nc_u32 v24, 2, v8 :: v_dual_add_nc_u32 v12, 4, v2
	v_dual_add_nc_u32 v26, 4, v8 :: v_dual_add_nc_u32 v14, 6, v2
	;; [unrolled: 1-line block ×6, first 2 shown]
	v_dual_add_nc_u32 v36, 14, v8 :: v_dual_ashrrev_i32 v27, 31, v26
	v_lshl_add_u64 v[8:9], v[8:9], 2, s[10:11]
	v_lshl_add_u64 v[10:11], v[10:11], 2, s[2:3]
	global_load_b64 v[22:23], v[22:23], off
	global_load_b64 v[40:41], v[8:9], off
	;; [unrolled: 1-line block ×3, first 2 shown]
	v_dual_mov_b32 v19, v3 :: v_dual_mov_b32 v21, v3
	v_dual_ashrrev_i32 v25, 31, v24 :: v_dual_ashrrev_i32 v31, 31, v30
	v_lshl_add_u64 v[12:13], v[12:13], 2, s[2:3]
	v_lshl_add_u64 v[14:15], v[14:15], 2, s[2:3]
	;; [unrolled: 1-line block ×4, first 2 shown]
	v_dual_ashrrev_i32 v29, 31, v28 :: v_dual_ashrrev_i32 v35, 31, v34
	s_add_co_i32 s19, s19, 16
	v_ashrrev_i32_e32 v33, 31, v32
	v_lshl_add_u64 v[20:21], v[20:21], 2, s[2:3]
	v_lshl_add_u64 v[38:39], v[2:3], 2, s[2:3]
	v_ashrrev_i32_e32 v37, 31, v36
	s_wait_xcnt 0x1
	v_lshl_add_u64 v[8:9], v[24:25], 2, s[10:11]
	s_clause 0x3
	global_load_b64 v[10:11], v[12:13], off
	global_load_b64 v[14:15], v[14:15], off
	;; [unrolled: 1-line block ×4, first 2 shown]
	s_wait_xcnt 0x3
	v_lshl_add_u64 v[12:13], v[26:27], 2, s[10:11]
	v_lshl_add_u64 v[24:25], v[28:29], 2, s[10:11]
	;; [unrolled: 1-line block ×3, first 2 shown]
	v_mov_b32_e32 v2, s19
	v_lshl_add_u64 v[28:29], v[32:33], 2, s[10:11]
	s_clause 0x1
	global_load_b64 v[20:21], v[20:21], off
	global_load_b64 v[32:33], v[38:39], off
	v_lshl_add_u64 v[30:31], v[34:35], 2, s[10:11]
	s_wait_loadcnt 0x7
	v_dual_add_nc_u32 v4, -8, v4 :: v_dual_add_nc_u32 v7, v41, v23
	v_lshl_add_u64 v[34:35], v[36:37], 2, s[10:11]
	s_clause 0x6
	global_load_b64 v[36:37], v[8:9], off
	global_load_b64 v[38:39], v[12:13], off
	;; [unrolled: 1-line block ×7, first 2 shown]
	s_wait_xcnt 0x6
	v_add_nc_u32_e32 v8, v40, v22
	v_cmp_eq_u32_e32 vcc_lo, 0, v4
	s_or_b32 s15, vcc_lo, s15
	s_wait_loadcnt 0x6
	s_wait_xcnt 0x5
	v_dual_add_nc_u32 v9, v37, v43 :: v_dual_add_nc_u32 v12, v36, v42
	s_wait_loadcnt 0x5
	v_dual_add_nc_u32 v11, v39, v11 :: v_dual_add_nc_u32 v10, v38, v10
	s_wait_loadcnt 0x4
	;; [unrolled: 2-line block ×6, first 2 shown]
	v_dual_add_nc_u32 v21, v53, v33 :: v_dual_add_nc_u32 v22, v52, v32
	ds_store_2addr_b32 v6, v8, v7 offset1:1
	ds_store_2addr_b32 v6, v12, v9 offset0:2 offset1:3
	ds_store_2addr_b32 v6, v10, v11 offset0:4 offset1:5
	;; [unrolled: 1-line block ×7, first 2 shown]
	v_add_nc_u32_e32 v6, 64, v6
	s_wait_xcnt 0x0
	s_and_not1_b32 exec_lo, exec_lo, s15
	s_cbranch_execnz .LBB2_3
; %bb.4:
	s_or_b32 exec_lo, exec_lo, s15
.LBB2_5:
	s_delay_alu instid0(SALU_CYCLE_1) | instskip(NEXT) | instid1(VALU_DEP_1)
	s_or_b32 exec_lo, exec_lo, s14
	v_and_b32_e32 v1, 7, v1
	s_mov_b32 s15, 0
	s_mov_b32 s14, exec_lo
	s_delay_alu instid0(VALU_DEP_1)
	v_cmpx_ne_u32_e32 0, v1
	s_cbranch_execz .LBB2_8
; %bb.6:
	v_dual_add_nc_u32 v2, v0, v2 :: v_dual_lshlrev_b32 v1, 2, v1
	s_delay_alu instid0(VALU_DEP_1)
	v_dual_mov_b32 v3, 0 :: v_dual_lshlrev_b32 v4, 2, v2
.LBB2_7:                                ; =>This Inner Loop Header: Depth=1
	s_delay_alu instid0(VALU_DEP_2) | instskip(NEXT) | instid1(VALU_DEP_2)
	v_dual_add_nc_u32 v6, s12, v2 :: v_dual_add_nc_u32 v1, -4, v1
	v_lshl_add_u64 v[8:9], v[2:3], 2, s[2:3]
	v_add_nc_u32_e32 v2, 2, v2
	s_delay_alu instid0(VALU_DEP_3) | instskip(NEXT) | instid1(VALU_DEP_4)
	v_ashrrev_i32_e32 v7, 31, v6
	v_cmp_eq_u32_e32 vcc_lo, 0, v1
	s_delay_alu instid0(VALU_DEP_2)
	v_lshl_add_u64 v[6:7], v[6:7], 2, s[10:11]
	s_or_b32 s15, vcc_lo, s15
	global_load_b64 v[10:11], v[8:9], off
	global_load_b64 v[12:13], v[6:7], off
	s_wait_loadcnt 0x0
	v_dual_add_nc_u32 v5, v13, v11 :: v_dual_add_nc_u32 v6, v12, v10
	ds_store_2addr_b32 v4, v6, v5 offset1:1
	v_add_nc_u32_e32 v4, 8, v4
	s_and_not1_b32 exec_lo, exec_lo, s15
	s_cbranch_execnz .LBB2_7
.LBB2_8:
	s_or_b32 exec_lo, exec_lo, s14
	v_sub_nc_u32_e32 v1, 0x400, v0
	s_delay_alu instid0(VALU_DEP_1) | instskip(NEXT) | instid1(VALU_DEP_1)
	v_and_b32_e32 v2, 0x7fe, v1
	v_cmp_ne_u32_e32 vcc_lo, v1, v2
	v_add_nc_u32_e32 v1, v0, v2
	s_or_not1_b32 s14, vcc_lo, exec_lo
.LBB2_9:
	s_or_b32 exec_lo, exec_lo, s13
	s_and_saveexec_b32 s19, s14
	s_cbranch_execz .LBB2_12
; %bb.10:
	v_dual_mov_b32 v3, 0 :: v_dual_lshlrev_b32 v2, 2, v1
	s_ashr_i32 s13, s12, 31
	s_mov_b32 s15, 0
	s_lshl_b64 s[12:13], s[12:13], 2
	s_lshl_b32 s14, s17, 2
	v_mov_b64_e32 v[4:5], v[2:3]
	s_add_nc_u64 s[10:11], s[10:11], s[12:13]
	s_mov_b32 s12, s15
.LBB2_11:                               ; =>This Inner Loop Header: Depth=1
	s_delay_alu instid0(VALU_DEP_1)
	v_add_nc_u64_e32 v[6:7], s[2:3], v[4:5]
	v_add_nc_u64_e32 v[8:9], s[10:11], v[4:5]
	;; [unrolled: 1-line block ×3, first 2 shown]
	global_load_b32 v3, v[6:7], off
	global_load_b32 v10, v[8:9], off
	s_wait_loadcnt 0x0
	v_dual_add_nc_u32 v1, s17, v1 :: v_dual_add_nc_u32 v3, v10, v3
	s_delay_alu instid0(VALU_DEP_1) | instskip(SKIP_3) | instid1(SALU_CYCLE_1)
	v_cmp_lt_u32_e32 vcc_lo, 0x3ff, v1
	ds_store_b32 v2, v3
	v_add_nc_u32_e32 v2, s14, v2
	s_or_b32 s12, vcc_lo, s12
	s_and_not1_b32 exec_lo, exec_lo, s12
	s_cbranch_execnz .LBB2_11
.LBB2_12:
	s_or_b32 exec_lo, exec_lo, s19
	s_load_b32 s10, s[0:1], 0x28
	v_mad_u32 v2, s18, s17, v0
	s_wait_dscnt 0x0
	s_barrier_signal -1
	s_barrier_wait -1
	s_wait_xcnt 0x0
	s_mov_b32 s0, exec_lo
	s_wait_kmcnt 0x0
	s_delay_alu instid0(VALU_DEP_1)
	v_cmpx_gt_i32_e64 s10, v2
	s_cbranch_execz .LBB2_15
; %bb.13:
	v_dual_ashrrev_i32 v3, 31, v2 :: v_dual_lshlrev_b32 v4, 7, v0
	s_mul_i32 s0, s16, s17
	s_delay_alu instid0(SALU_CYCLE_1) | instskip(NEXT) | instid1(VALU_DEP_1)
	s_ashr_i32 s1, s0, 31
	v_lshlrev_b64_e32 v[0:1], 2, v[2:3]
	s_delay_alu instid0(VALU_DEP_2)
	v_and_b32_e32 v3, 0x1f000, v4
	s_lshl_b64 s[2:3], s[0:1], 2
	s_mov_b32 s1, 0
.LBB2_14:                               ; =>This Inner Loop Header: Depth=1
	s_delay_alu instid0(VALU_DEP_2) | instskip(SKIP_1) | instid1(VALU_DEP_1)
	v_add_nc_u64_e32 v[4:5], s[6:7], v[0:1]
	v_add_nc_u32_e32 v2, s0, v2
	v_cmp_le_i32_e32 vcc_lo, s10, v2
	global_load_b32 v6, v[4:5], off
	s_wait_xcnt 0x0
	v_add_nc_u64_e32 v[4:5], s[4:5], v[0:1]
	v_add_nc_u64_e32 v[0:1], s[2:3], v[0:1]
	s_or_b32 s1, vcc_lo, s1
	global_load_b32 v4, v[4:5], off
	s_wait_loadcnt 0x1
	s_wait_xcnt 0x0
	v_and_b32_e32 v5, 0x3ff, v6
	v_ashrrev_i32_e32 v6, 10, v6
	s_delay_alu instid0(VALU_DEP_2)
	v_lshl_add_u32 v5, v5, 2, v3
	ds_load_b32 v5, v5
	s_wait_dscnt 0x0
	v_add_nc_u32_e32 v5, v5, v6
	s_wait_loadcnt 0x0
	global_store_b32 v5, v4, s[8:9] scale_offset
	s_wait_xcnt 0x0
	s_and_not1_b32 exec_lo, exec_lo, s1
	s_cbranch_execnz .LBB2_14
.LBB2_15:
	s_endpgm
	.section	.rodata,"a",@progbits
	.p2align	6, 0x0
	.amdhsa_kernel _Z10bucketsortPKfPKiPfPKjS5_i
		.amdhsa_group_segment_fixed_size 4096
		.amdhsa_private_segment_fixed_size 0
		.amdhsa_kernarg_size 304
		.amdhsa_user_sgpr_count 2
		.amdhsa_user_sgpr_dispatch_ptr 0
		.amdhsa_user_sgpr_queue_ptr 0
		.amdhsa_user_sgpr_kernarg_segment_ptr 1
		.amdhsa_user_sgpr_dispatch_id 0
		.amdhsa_user_sgpr_kernarg_preload_length 0
		.amdhsa_user_sgpr_kernarg_preload_offset 0
		.amdhsa_user_sgpr_private_segment_size 0
		.amdhsa_wavefront_size32 1
		.amdhsa_uses_dynamic_stack 0
		.amdhsa_enable_private_segment 0
		.amdhsa_system_sgpr_workgroup_id_x 1
		.amdhsa_system_sgpr_workgroup_id_y 0
		.amdhsa_system_sgpr_workgroup_id_z 0
		.amdhsa_system_sgpr_workgroup_info 0
		.amdhsa_system_vgpr_workitem_id 0
		.amdhsa_next_free_vgpr 54
		.amdhsa_next_free_sgpr 20
		.amdhsa_named_barrier_count 0
		.amdhsa_reserve_vcc 1
		.amdhsa_float_round_mode_32 0
		.amdhsa_float_round_mode_16_64 0
		.amdhsa_float_denorm_mode_32 3
		.amdhsa_float_denorm_mode_16_64 3
		.amdhsa_fp16_overflow 0
		.amdhsa_memory_ordered 1
		.amdhsa_forward_progress 1
		.amdhsa_inst_pref_size 13
		.amdhsa_round_robin_scheduling 0
		.amdhsa_exception_fp_ieee_invalid_op 0
		.amdhsa_exception_fp_denorm_src 0
		.amdhsa_exception_fp_ieee_div_zero 0
		.amdhsa_exception_fp_ieee_overflow 0
		.amdhsa_exception_fp_ieee_underflow 0
		.amdhsa_exception_fp_ieee_inexact 0
		.amdhsa_exception_int_div_zero 0
	.end_amdhsa_kernel
	.text
.Lfunc_end2:
	.size	_Z10bucketsortPKfPKiPfPKjS5_i, .Lfunc_end2-_Z10bucketsortPKfPKiPfPKjS5_i
                                        ; -- End function
	.set _Z10bucketsortPKfPKiPfPKjS5_i.num_vgpr, 54
	.set _Z10bucketsortPKfPKiPfPKjS5_i.num_agpr, 0
	.set _Z10bucketsortPKfPKiPfPKjS5_i.numbered_sgpr, 20
	.set _Z10bucketsortPKfPKiPfPKjS5_i.num_named_barrier, 0
	.set _Z10bucketsortPKfPKiPfPKjS5_i.private_seg_size, 0
	.set _Z10bucketsortPKfPKiPfPKjS5_i.uses_vcc, 1
	.set _Z10bucketsortPKfPKiPfPKjS5_i.uses_flat_scratch, 0
	.set _Z10bucketsortPKfPKiPfPKjS5_i.has_dyn_sized_stack, 0
	.set _Z10bucketsortPKfPKiPfPKjS5_i.has_recursion, 0
	.set _Z10bucketsortPKfPKiPfPKjS5_i.has_indirect_call, 0
	.section	.AMDGPU.csdata,"",@progbits
; Kernel info:
; codeLenInByte = 1552
; TotalNumSgprs: 22
; NumVgprs: 54
; ScratchSize: 0
; MemoryBound: 0
; FloatMode: 240
; IeeeMode: 1
; LDSByteSize: 4096 bytes/workgroup (compile time only)
; SGPRBlocks: 0
; VGPRBlocks: 3
; NumSGPRsForWavesPerEU: 22
; NumVGPRsForWavesPerEU: 54
; NamedBarCnt: 0
; Occupancy: 16
; WaveLimiterHint : 1
; COMPUTE_PGM_RSRC2:SCRATCH_EN: 0
; COMPUTE_PGM_RSRC2:USER_SGPR: 2
; COMPUTE_PGM_RSRC2:TRAP_HANDLER: 0
; COMPUTE_PGM_RSRC2:TGID_X_EN: 1
; COMPUTE_PGM_RSRC2:TGID_Y_EN: 0
; COMPUTE_PGM_RSRC2:TGID_Z_EN: 0
; COMPUTE_PGM_RSRC2:TIDIG_COMP_CNT: 0
	.text
	.protected	_Z13histogram1024PjPKfiff ; -- Begin function _Z13histogram1024PjPKfiff
	.globl	_Z13histogram1024PjPKfiff
	.p2align	8
	.type	_Z13histogram1024PjPKfiff,@function
_Z13histogram1024PjPKfiff:              ; @_Z13histogram1024PjPKfiff
; %bb.0:
	s_clause 0x1
	s_load_b32 s3, s[0:1], 0x2c
	s_load_b32 s2, s[0:1], 0x20
	v_dual_mov_b32 v1, v0 :: v_dual_lshlrev_b32 v2, 2, v0
	s_mov_b32 s4, -1
	s_wait_kmcnt 0x0
	s_and_b32 s11, s3, 0xffff
	s_delay_alu instid0(SALU_CYCLE_1)
	s_cmp_lg_u32 s11, 1
	s_cbranch_scc1 .LBB3_7
; %bb.1:
	v_sub_nc_u32_e32 v1, 0xbfe, v0
	s_mov_b32 s3, 0
	s_delay_alu instid0(VALU_DEP_1) | instskip(NEXT) | instid1(VALU_DEP_1)
	v_dual_mov_b32 v5, 0 :: v_dual_lshrrev_b32 v1, 1, v1
	v_dual_add_nc_u32 v3, 1, v1 :: v_dual_lshlrev_b32 v1, 2, v0
	s_delay_alu instid0(VALU_DEP_1)
	v_and_b32_e32 v4, 0xff8, v3
.LBB3_2:                                ; =>This Inner Loop Header: Depth=1
	s_delay_alu instid0(VALU_DEP_1)
	v_add_nc_u32_e32 v4, -8, v4
	ds_store_2addr_b32 v1, v5, v5 offset1:1
	ds_store_2addr_b32 v1, v5, v5 offset0:2 offset1:3
	ds_store_2addr_b32 v1, v5, v5 offset0:4 offset1:5
	;; [unrolled: 1-line block ×7, first 2 shown]
	v_add_nc_u32_e32 v1, 64, v1
	v_cmp_eq_u32_e32 vcc_lo, 0, v4
	s_or_b32 s3, vcc_lo, s3
	s_delay_alu instid0(SALU_CYCLE_1)
	s_and_not1_b32 exec_lo, exec_lo, s3
	s_cbranch_execnz .LBB3_2
; %bb.3:
	s_or_b32 exec_lo, exec_lo, s3
	v_and_b32_e32 v3, 7, v3
	s_mov_b32 s4, 0
	s_mov_b32 s3, exec_lo
	s_delay_alu instid0(VALU_DEP_1)
	v_cmpx_ne_u32_e32 0, v3
	s_cbranch_execz .LBB3_6
; %bb.4:
	v_dual_mov_b32 v4, 0 :: v_dual_sub_nc_u32 v3, 0, v3
.LBB3_5:                                ; =>This Inner Loop Header: Depth=1
	ds_store_2addr_b32 v1, v4, v4 offset1:1
	v_add_nc_u32_e32 v1, 8, v1
	v_add_co_u32 v3, s5, v3, 1
	s_or_b32 s4, s5, s4
	s_delay_alu instid0(SALU_CYCLE_1)
	s_and_not1_b32 exec_lo, exec_lo, s4
	s_cbranch_execnz .LBB3_5
.LBB3_6:
	s_or_b32 exec_lo, exec_lo, s3
	v_sub_nc_u32_e32 v3, 0xc00, v0
	s_delay_alu instid0(VALU_DEP_1) | instskip(NEXT) | instid1(VALU_DEP_1)
	v_and_b32_e32 v4, 0xffe, v3
	v_add_nc_u32_e32 v1, v0, v4
	v_cmp_ne_u32_e64 s4, v3, v4
.LBB3_7:
	s_delay_alu instid0(VALU_DEP_1)
	s_and_saveexec_b32 s3, s4
	s_cbranch_execz .LBB3_10
; %bb.8:
	s_delay_alu instid0(VALU_DEP_2)
	v_dual_mov_b32 v4, 0 :: v_dual_lshlrev_b32 v3, 2, v1
	s_lshl_b32 s4, s11, 2
	s_mov_b32 s5, 0
.LBB3_9:                                ; =>This Inner Loop Header: Depth=1
	v_add_nc_u32_e32 v1, s11, v1
	ds_store_b32 v3, v4
	v_add_nc_u32_e32 v3, s4, v3
	v_cmp_lt_u32_e32 vcc_lo, 0xbff, v1
	s_or_b32 s5, vcc_lo, s5
	s_delay_alu instid0(SALU_CYCLE_1)
	s_and_not1_b32 exec_lo, exec_lo, s5
	s_cbranch_execnz .LBB3_9
.LBB3_10:
	s_or_b32 exec_lo, exec_lo, s3
	s_bfe_u32 s3, ttmp6, 0x4000c
	s_clause 0x1
	s_load_b128 s[4:7], s[0:1], 0x0
	s_load_b96 s[8:10], s[0:1], 0x10
	s_add_co_i32 s3, s3, 1
	s_wait_xcnt 0x0
	s_and_b32 s0, ttmp6, 15
	s_mul_i32 s1, ttmp9, s3
	s_getreg_b32 s3, hwreg(HW_REG_IB_STS2, 6, 4)
	s_add_co_i32 s0, s0, s1
	s_cmp_eq_u32 s3, 0
	s_mov_b32 s12, 0
	s_cselect_b32 s0, ttmp9, s0
	s_mov_b32 s13, exec_lo
	v_mad_u32 v4, s0, s11, v0
	s_wait_dscnt 0x0
	s_barrier_signal -1
	s_barrier_wait -1
	s_wait_kmcnt 0x0
	s_delay_alu instid0(VALU_DEP_1)
	v_cmpx_gt_i32_e64 s8, v4
	s_cbranch_execz .LBB3_13
; %bb.11:
	v_dual_lshlrev_b32 v1, 7, v0 :: v_dual_mov_b32 v3, 1
	v_ashrrev_i32_e32 v5, 31, v4
	s_mul_i32 s0, s2, s11
	s_sub_f32 s10, s10, s9
	s_delay_alu instid0(VALU_DEP_2)
	v_and_b32_e32 v1, 0x1f000, v1
	s_ashr_i32 s1, s0, 31
	v_lshl_add_u64 v[6:7], v[4:5], 2, s[6:7]
	s_lshl_b64 s[2:3], s[0:1], 2
.LBB3_12:                               ; =>This Inner Loop Header: Depth=1
	global_load_b32 v5, v[6:7], off
	s_wait_xcnt 0x0
	v_add_nc_u64_e32 v[6:7], s[2:3], v[6:7]
	s_wait_loadcnt 0x0
	v_dual_subrev_f32 v5, s9, v5 :: v_dual_add_nc_u32 v4, s0, v4
	s_delay_alu instid0(VALU_DEP_1) | instskip(SKIP_1) | instid1(VALU_DEP_2)
	v_div_scale_f32 v8, null, s10, s10, v5
	v_div_scale_f32 v11, vcc_lo, v5, s10, v5
	v_rcp_f32_e32 v9, v8
	v_nop
	s_delay_alu instid0(TRANS32_DEP_1) | instskip(NEXT) | instid1(VALU_DEP_1)
	v_fma_f32 v10, -v8, v9, 1.0
	v_fmac_f32_e32 v9, v10, v9
	s_delay_alu instid0(VALU_DEP_1) | instskip(NEXT) | instid1(VALU_DEP_1)
	v_mul_f32_e32 v10, v11, v9
	v_fma_f32 v12, -v8, v10, v11
	s_delay_alu instid0(VALU_DEP_1) | instskip(NEXT) | instid1(VALU_DEP_1)
	v_fmac_f32_e32 v10, v12, v9
	v_fma_f32 v8, -v8, v10, v11
	s_delay_alu instid0(VALU_DEP_1) | instskip(SKIP_1) | instid1(VALU_DEP_2)
	v_div_fmas_f32 v8, v8, v9, v10
	v_cmp_le_i32_e32 vcc_lo, s8, v4
	v_div_fixup_f32 v5, v8, s10, v5
	s_or_b32 s12, vcc_lo, s12
	s_delay_alu instid0(VALU_DEP_1) | instskip(NEXT) | instid1(VALU_DEP_1)
	v_mul_f32_e32 v5, 0x44800000, v5
	v_cvt_u32_f32_e32 v5, v5
	s_delay_alu instid0(VALU_DEP_1) | instskip(NEXT) | instid1(VALU_DEP_1)
	v_and_b32_e32 v5, 0x3ff, v5
	v_lshl_add_u32 v5, v5, 2, v1
	ds_add_u32 v5, v3
	s_and_not1_b32 exec_lo, exec_lo, s12
	s_cbranch_execnz .LBB3_12
.LBB3_13:
	s_or_b32 exec_lo, exec_lo, s13
	v_mov_b32_e32 v3, 0
	s_mov_b32 s1, 0
	s_lshl_b32 s0, s11, 2
	s_mov_b32 s2, s1
	s_wait_dscnt 0x0
	v_add_nc_u64_e32 v[4:5], s[4:5], v[2:3]
	s_barrier_signal -1
	s_barrier_wait -1
.LBB3_14:                               ; =>This Inner Loop Header: Depth=1
	ds_load_2addr_stride64_b32 v[6:7], v2 offset1:16
	ds_load_b32 v1, v2 offset:8192
	v_dual_add_nc_u32 v0, s11, v0 :: v_dual_add_nc_u32 v2, s0, v2
	s_delay_alu instid0(VALU_DEP_1)
	v_cmp_lt_u32_e32 vcc_lo, 0x3ff, v0
	s_or_b32 s2, vcc_lo, s2
	s_wait_dscnt 0x1
	v_and_b32_e32 v3, 0x7ffffff, v6
	v_and_b32_e32 v6, 0x7ffffff, v7
	s_wait_dscnt 0x0
	v_and_b32_e32 v1, 0x7ffffff, v1
	s_delay_alu instid0(VALU_DEP_1)
	v_add3_u32 v1, v6, v3, v1
	global_atomic_add_u32 v[4:5], v1, off scope:SCOPE_DEV
	s_wait_xcnt 0x0
	v_add_nc_u64_e32 v[4:5], s[0:1], v[4:5]
	s_and_not1_b32 exec_lo, exec_lo, s2
	s_cbranch_execnz .LBB3_14
; %bb.15:
	s_endpgm
	.section	.rodata,"a",@progbits
	.p2align	6, 0x0
	.amdhsa_kernel _Z13histogram1024PjPKfiff
		.amdhsa_group_segment_fixed_size 12288
		.amdhsa_private_segment_fixed_size 0
		.amdhsa_kernarg_size 288
		.amdhsa_user_sgpr_count 2
		.amdhsa_user_sgpr_dispatch_ptr 0
		.amdhsa_user_sgpr_queue_ptr 0
		.amdhsa_user_sgpr_kernarg_segment_ptr 1
		.amdhsa_user_sgpr_dispatch_id 0
		.amdhsa_user_sgpr_kernarg_preload_length 0
		.amdhsa_user_sgpr_kernarg_preload_offset 0
		.amdhsa_user_sgpr_private_segment_size 0
		.amdhsa_wavefront_size32 1
		.amdhsa_uses_dynamic_stack 0
		.amdhsa_enable_private_segment 0
		.amdhsa_system_sgpr_workgroup_id_x 1
		.amdhsa_system_sgpr_workgroup_id_y 0
		.amdhsa_system_sgpr_workgroup_id_z 0
		.amdhsa_system_sgpr_workgroup_info 0
		.amdhsa_system_vgpr_workitem_id 0
		.amdhsa_next_free_vgpr 13
		.amdhsa_next_free_sgpr 14
		.amdhsa_named_barrier_count 0
		.amdhsa_reserve_vcc 1
		.amdhsa_float_round_mode_32 0
		.amdhsa_float_round_mode_16_64 0
		.amdhsa_float_denorm_mode_32 3
		.amdhsa_float_denorm_mode_16_64 3
		.amdhsa_fp16_overflow 0
		.amdhsa_memory_ordered 1
		.amdhsa_forward_progress 1
		.amdhsa_inst_pref_size 7
		.amdhsa_round_robin_scheduling 0
		.amdhsa_exception_fp_ieee_invalid_op 0
		.amdhsa_exception_fp_denorm_src 0
		.amdhsa_exception_fp_ieee_div_zero 0
		.amdhsa_exception_fp_ieee_overflow 0
		.amdhsa_exception_fp_ieee_underflow 0
		.amdhsa_exception_fp_ieee_inexact 0
		.amdhsa_exception_int_div_zero 0
	.end_amdhsa_kernel
	.text
.Lfunc_end3:
	.size	_Z13histogram1024PjPKfiff, .Lfunc_end3-_Z13histogram1024PjPKfiff
                                        ; -- End function
	.set _Z13histogram1024PjPKfiff.num_vgpr, 13
	.set _Z13histogram1024PjPKfiff.num_agpr, 0
	.set _Z13histogram1024PjPKfiff.numbered_sgpr, 14
	.set _Z13histogram1024PjPKfiff.num_named_barrier, 0
	.set _Z13histogram1024PjPKfiff.private_seg_size, 0
	.set _Z13histogram1024PjPKfiff.uses_vcc, 1
	.set _Z13histogram1024PjPKfiff.uses_flat_scratch, 0
	.set _Z13histogram1024PjPKfiff.has_dyn_sized_stack, 0
	.set _Z13histogram1024PjPKfiff.has_recursion, 0
	.set _Z13histogram1024PjPKfiff.has_indirect_call, 0
	.section	.AMDGPU.csdata,"",@progbits
; Kernel info:
; codeLenInByte = 892
; TotalNumSgprs: 16
; NumVgprs: 13
; ScratchSize: 0
; MemoryBound: 0
; FloatMode: 240
; IeeeMode: 1
; LDSByteSize: 12288 bytes/workgroup (compile time only)
; SGPRBlocks: 0
; VGPRBlocks: 0
; NumSGPRsForWavesPerEU: 16
; NumVGPRsForWavesPerEU: 13
; NamedBarCnt: 0
; Occupancy: 16
; WaveLimiterHint : 0
; COMPUTE_PGM_RSRC2:SCRATCH_EN: 0
; COMPUTE_PGM_RSRC2:USER_SGPR: 2
; COMPUTE_PGM_RSRC2:TRAP_HANDLER: 0
; COMPUTE_PGM_RSRC2:TGID_X_EN: 1
; COMPUTE_PGM_RSRC2:TGID_Y_EN: 0
; COMPUTE_PGM_RSRC2:TGID_Z_EN: 0
; COMPUTE_PGM_RSRC2:TIDIG_COMP_CNT: 0
	.text
	.p2alignl 7, 3214868480
	.fill 96, 4, 3214868480
	.section	.AMDGPU.gpr_maximums,"",@progbits
	.set amdgpu.max_num_vgpr, 0
	.set amdgpu.max_num_agpr, 0
	.set amdgpu.max_num_sgpr, 0
	.text
	.type	__hip_cuid_618f92a0ced3f39c,@object ; @__hip_cuid_618f92a0ced3f39c
	.section	.bss,"aw",@nobits
	.globl	__hip_cuid_618f92a0ced3f39c
__hip_cuid_618f92a0ced3f39c:
	.byte	0                               ; 0x0
	.size	__hip_cuid_618f92a0ced3f39c, 1

	.ident	"AMD clang version 22.0.0git (https://github.com/RadeonOpenCompute/llvm-project roc-7.2.4 26084 f58b06dce1f9c15707c5f808fd002e18c2accf7e)"
	.section	".note.GNU-stack","",@progbits
	.addrsig
	.addrsig_sym __hip_cuid_618f92a0ced3f39c
	.amdgpu_metadata
---
amdhsa.kernels:
  - .args:
      - .address_space:  global
        .offset:         0
        .size:           8
        .value_kind:     global_buffer
      - .address_space:  global
        .offset:         8
        .size:           8
        .value_kind:     global_buffer
      - .address_space:  global
        .offset:         16
        .size:           8
        .value_kind:     global_buffer
      - .address_space:  global
        .offset:         24
        .size:           8
        .value_kind:     global_buffer
      - .offset:         32
        .size:           4
        .value_kind:     by_value
      - .offset:         40
        .size:           4
        .value_kind:     hidden_block_count_x
      - .offset:         44
        .size:           4
        .value_kind:     hidden_block_count_y
      - .offset:         48
        .size:           4
        .value_kind:     hidden_block_count_z
      - .offset:         52
        .size:           2
        .value_kind:     hidden_group_size_x
      - .offset:         54
        .size:           2
        .value_kind:     hidden_group_size_y
      - .offset:         56
        .size:           2
        .value_kind:     hidden_group_size_z
      - .offset:         58
        .size:           2
        .value_kind:     hidden_remainder_x
      - .offset:         60
        .size:           2
        .value_kind:     hidden_remainder_y
      - .offset:         62
        .size:           2
        .value_kind:     hidden_remainder_z
      - .offset:         80
        .size:           8
        .value_kind:     hidden_global_offset_x
      - .offset:         88
        .size:           8
        .value_kind:     hidden_global_offset_y
      - .offset:         96
        .size:           8
        .value_kind:     hidden_global_offset_z
      - .offset:         104
        .size:           2
        .value_kind:     hidden_grid_dims
    .group_segment_fixed_size: 4096
    .kernarg_segment_align: 8
    .kernarg_segment_size: 296
    .language:       OpenCL C
    .language_version:
      - 2
      - 0
    .max_flat_workgroup_size: 1024
    .name:           _Z11bucketcountPKfPiPjS0_i
    .private_segment_fixed_size: 0
    .sgpr_count:     21
    .sgpr_spill_count: 0
    .symbol:         _Z11bucketcountPKfPiPjS0_i.kd
    .uniform_work_group_size: 1
    .uses_dynamic_stack: false
    .vgpr_count:     40
    .vgpr_spill_count: 0
    .wavefront_size: 32
  - .args:
      - .address_space:  global
        .offset:         0
        .size:           8
        .value_kind:     global_buffer
      - .address_space:  global
        .offset:         8
        .size:           8
        .value_kind:     global_buffer
      - .offset:         16
        .size:           4
        .value_kind:     by_value
      - .offset:         24
        .size:           4
        .value_kind:     hidden_block_count_x
      - .offset:         28
        .size:           4
        .value_kind:     hidden_block_count_y
      - .offset:         32
        .size:           4
        .value_kind:     hidden_block_count_z
      - .offset:         36
        .size:           2
        .value_kind:     hidden_group_size_x
      - .offset:         38
        .size:           2
        .value_kind:     hidden_group_size_y
      - .offset:         40
        .size:           2
        .value_kind:     hidden_group_size_z
      - .offset:         42
        .size:           2
        .value_kind:     hidden_remainder_x
      - .offset:         44
        .size:           2
        .value_kind:     hidden_remainder_y
      - .offset:         46
        .size:           2
        .value_kind:     hidden_remainder_z
      - .offset:         64
        .size:           8
        .value_kind:     hidden_global_offset_x
      - .offset:         72
        .size:           8
        .value_kind:     hidden_global_offset_y
      - .offset:         80
        .size:           8
        .value_kind:     hidden_global_offset_z
      - .offset:         88
        .size:           2
        .value_kind:     hidden_grid_dims
    .group_segment_fixed_size: 0
    .kernarg_segment_align: 8
    .kernarg_segment_size: 280
    .language:       OpenCL C
    .language_version:
      - 2
      - 0
    .max_flat_workgroup_size: 1024
    .name:           _Z12bucketprefixPjS_i
    .private_segment_fixed_size: 0
    .sgpr_count:     9
    .sgpr_spill_count: 0
    .symbol:         _Z12bucketprefixPjS_i.kd
    .uniform_work_group_size: 1
    .uses_dynamic_stack: false
    .vgpr_count:     7
    .vgpr_spill_count: 0
    .wavefront_size: 32
  - .args:
      - .address_space:  global
        .offset:         0
        .size:           8
        .value_kind:     global_buffer
      - .address_space:  global
        .offset:         8
        .size:           8
        .value_kind:     global_buffer
      - .address_space:  global
        .offset:         16
        .size:           8
        .value_kind:     global_buffer
      - .address_space:  global
        .offset:         24
        .size:           8
        .value_kind:     global_buffer
      - .address_space:  global
        .offset:         32
        .size:           8
        .value_kind:     global_buffer
      - .offset:         40
        .size:           4
        .value_kind:     by_value
      - .offset:         48
        .size:           4
        .value_kind:     hidden_block_count_x
      - .offset:         52
        .size:           4
        .value_kind:     hidden_block_count_y
      - .offset:         56
        .size:           4
        .value_kind:     hidden_block_count_z
      - .offset:         60
        .size:           2
        .value_kind:     hidden_group_size_x
      - .offset:         62
        .size:           2
        .value_kind:     hidden_group_size_y
      - .offset:         64
        .size:           2
        .value_kind:     hidden_group_size_z
      - .offset:         66
        .size:           2
        .value_kind:     hidden_remainder_x
      - .offset:         68
        .size:           2
        .value_kind:     hidden_remainder_y
      - .offset:         70
        .size:           2
        .value_kind:     hidden_remainder_z
      - .offset:         88
        .size:           8
        .value_kind:     hidden_global_offset_x
      - .offset:         96
        .size:           8
        .value_kind:     hidden_global_offset_y
      - .offset:         104
        .size:           8
        .value_kind:     hidden_global_offset_z
      - .offset:         112
        .size:           2
        .value_kind:     hidden_grid_dims
    .group_segment_fixed_size: 4096
    .kernarg_segment_align: 8
    .kernarg_segment_size: 304
    .language:       OpenCL C
    .language_version:
      - 2
      - 0
    .max_flat_workgroup_size: 1024
    .name:           _Z10bucketsortPKfPKiPfPKjS5_i
    .private_segment_fixed_size: 0
    .sgpr_count:     22
    .sgpr_spill_count: 0
    .symbol:         _Z10bucketsortPKfPKiPfPKjS5_i.kd
    .uniform_work_group_size: 1
    .uses_dynamic_stack: false
    .vgpr_count:     54
    .vgpr_spill_count: 0
    .wavefront_size: 32
  - .args:
      - .address_space:  global
        .offset:         0
        .size:           8
        .value_kind:     global_buffer
      - .address_space:  global
        .offset:         8
        .size:           8
        .value_kind:     global_buffer
      - .offset:         16
        .size:           4
        .value_kind:     by_value
      - .offset:         20
        .size:           4
        .value_kind:     by_value
      - .offset:         24
        .size:           4
        .value_kind:     by_value
      - .offset:         32
        .size:           4
        .value_kind:     hidden_block_count_x
      - .offset:         36
        .size:           4
        .value_kind:     hidden_block_count_y
      - .offset:         40
        .size:           4
        .value_kind:     hidden_block_count_z
      - .offset:         44
        .size:           2
        .value_kind:     hidden_group_size_x
      - .offset:         46
        .size:           2
        .value_kind:     hidden_group_size_y
      - .offset:         48
        .size:           2
        .value_kind:     hidden_group_size_z
      - .offset:         50
        .size:           2
        .value_kind:     hidden_remainder_x
      - .offset:         52
        .size:           2
        .value_kind:     hidden_remainder_y
      - .offset:         54
        .size:           2
        .value_kind:     hidden_remainder_z
      - .offset:         72
        .size:           8
        .value_kind:     hidden_global_offset_x
      - .offset:         80
        .size:           8
        .value_kind:     hidden_global_offset_y
      - .offset:         88
        .size:           8
        .value_kind:     hidden_global_offset_z
      - .offset:         96
        .size:           2
        .value_kind:     hidden_grid_dims
    .group_segment_fixed_size: 12288
    .kernarg_segment_align: 8
    .kernarg_segment_size: 288
    .language:       OpenCL C
    .language_version:
      - 2
      - 0
    .max_flat_workgroup_size: 1024
    .name:           _Z13histogram1024PjPKfiff
    .private_segment_fixed_size: 0
    .sgpr_count:     16
    .sgpr_spill_count: 0
    .symbol:         _Z13histogram1024PjPKfiff.kd
    .uniform_work_group_size: 1
    .uses_dynamic_stack: false
    .vgpr_count:     13
    .vgpr_spill_count: 0
    .wavefront_size: 32
amdhsa.target:   amdgcn-amd-amdhsa--gfx1250
amdhsa.version:
  - 1
  - 2
...

	.end_amdgpu_metadata
